;; amdgpu-corpus repo=ROCm/HIPIFY kind=compiled arch=gfx1250 opt=O3
	.amdgcn_target "amdgcn-amd-amdhsa--gfx1250"
	.amdhsa_code_object_version 6
	.section	.text._Z10testKernelIiEvPT_,"axG",@progbits,_Z10testKernelIiEvPT_,comdat
	.protected	_Z10testKernelIiEvPT_   ; -- Begin function _Z10testKernelIiEvPT_
	.globl	_Z10testKernelIiEvPT_
	.p2align	8
	.type	_Z10testKernelIiEvPT_,@function
_Z10testKernelIiEvPT_:                  ; @_Z10testKernelIiEvPT_
; %bb.0:
	s_load_b64 s[2:3], s[0:1], 0x0
	s_mov_b32 s5, exec_lo
	s_mov_b32 s4, exec_lo
	v_mbcnt_lo_u32_b32 v1, s5, 0
	s_delay_alu instid0(VALU_DEP_1)
	v_cmpx_eq_u32_e32 0, v1
	s_cbranch_execz .LBB0_2
; %bb.1:
	s_bcnt1_i32_b32 s5, s5
	s_delay_alu instid0(SALU_CYCLE_1) | instskip(NEXT) | instid1(SALU_CYCLE_1)
	s_mul_i32 s5, s5, 10
	v_dual_mov_b32 v1, 0 :: v_dual_mov_b32 v2, s5
	s_wait_xcnt 0x0
	s_wait_kmcnt 0x0
	global_atomic_add_u32 v1, v2, s[2:3] scope:SCOPE_DEV
.LBB0_2:
	s_wait_xcnt 0x0
	s_or_b32 exec_lo, exec_lo, s4
	s_load_b32 s0, s[0:1], 0x14
	s_wait_xcnt 0x0
	s_bfe_u32 s1, ttmp6, 0x4000c
	s_and_b32 s5, ttmp6, 15
	s_add_co_i32 s1, s1, 1
	s_getreg_b32 s6, hwreg(HW_REG_IB_STS2, 6, 4)
	s_mul_i32 s1, ttmp9, s1
	s_mov_b32 s4, exec_lo
	s_add_co_i32 s5, s5, s1
	s_wait_kmcnt 0x0
	s_and_b32 s0, s0, 0xffff
	s_cmp_eq_u32 s6, 0
	s_cselect_b32 s1, ttmp9, s5
	s_delay_alu instid0(SALU_CYCLE_1)
	v_mad_u32 v0, s1, s0, v0
	s_brev_b32 s0, 1
.LBB0_3:                                ; =>This Inner Loop Header: Depth=1
	s_ctz_i32_b32 s1, s4
	s_delay_alu instid0(VALU_DEP_1) | instid1(SALU_CYCLE_1)
	v_readlane_b32 s5, v0, s1
	s_lshl_b32 s1, 1, s1
	s_delay_alu instid0(SALU_CYCLE_1)
	s_and_not1_b32 s4, s4, s1
	s_max_i32 s0, s0, s5
	s_cmp_lg_u32 s4, 0
	s_cbranch_scc1 .LBB0_3
; %bb.4:
	v_mbcnt_lo_u32_b32 v1, exec_lo, 0
	s_mov_b32 s1, exec_lo
	s_delay_alu instid0(VALU_DEP_1)
	v_cmpx_eq_u32_e32 0, v1
	s_xor_b32 s1, exec_lo, s1
	s_cbranch_execz .LBB0_6
; %bb.5:
	v_dual_mov_b32 v1, 0 :: v_dual_mov_b32 v2, s0
	global_atomic_max_i32 v1, v2, s[2:3] offset:12 scope:SCOPE_DEV
.LBB0_6:
	s_wait_xcnt 0x0
	s_or_b32 exec_lo, exec_lo, s1
	s_delay_alu instid0(SALU_CYCLE_1)
	s_mov_b32 s1, exec_lo
	s_brev_b32 s0, -2
.LBB0_7:                                ; =>This Inner Loop Header: Depth=1
	s_ctz_i32_b32 s4, s1
	s_delay_alu instid0(SALU_CYCLE_1) | instskip(SKIP_1) | instid1(SALU_CYCLE_1)
	v_readlane_b32 s5, v0, s4
	s_lshl_b32 s4, 1, s4
	s_and_not1_b32 s1, s1, s4
	s_min_i32 s0, s0, s5
	s_cmp_lg_u32 s1, 0
	s_cbranch_scc1 .LBB0_7
; %bb.8:
	v_mbcnt_lo_u32_b32 v1, exec_lo, 0
	s_mov_b32 s1, exec_lo
	s_delay_alu instid0(VALU_DEP_1)
	v_cmpx_eq_u32_e32 0, v1
	s_xor_b32 s1, exec_lo, s1
	s_cbranch_execz .LBB0_10
; %bb.9:
	v_dual_mov_b32 v1, 0 :: v_dual_mov_b32 v2, s0
	global_atomic_min_i32 v1, v2, s[2:3] offset:16 scope:SCOPE_DEV
.LBB0_10:
	s_wait_xcnt 0x0
	s_or_b32 exec_lo, exec_lo, s1
	v_dual_mov_b32 v2, 0 :: v_dual_mov_b32 v3, 17
	v_dual_mov_b32 v4, 0x89 :: v_dual_add_nc_u32 v1, -1, v0
	s_mov_b32 s0, exec_lo
	global_atomic_inc_u32 v2, v3, s[2:3] offset:20 scope:SCOPE_DEV
	s_wait_xcnt 0x0
	global_atomic_dec_u32 v2, v4, s[2:3] offset:24 scope:SCOPE_DEV
	s_wait_xcnt 0x0
	global_atomic_cmpswap_b32 v2, v[0:1], s[2:3] offset:28 scope:SCOPE_DEV
	s_wait_xcnt 0x0
	v_lshl_add_u32 v1, v0, 1, 7
	s_mov_b32 s1, -1
.LBB0_11:                               ; =>This Inner Loop Header: Depth=1
	s_ctz_i32_b32 s4, s0
	s_delay_alu instid0(VALU_DEP_1) | instid1(SALU_CYCLE_1)
	v_readlane_b32 s5, v1, s4
	s_lshl_b32 s4, 1, s4
	s_delay_alu instid0(SALU_CYCLE_1)
	s_and_not1_b32 s0, s0, s4
	s_and_b32 s1, s1, s5
	s_cmp_lg_u32 s0, 0
	s_cbranch_scc1 .LBB0_11
; %bb.12:
	v_mbcnt_lo_u32_b32 v1, exec_lo, 0
	s_mov_b32 s0, 0
	s_mov_b32 s4, exec_lo
	s_delay_alu instid0(VALU_DEP_1)
	v_cmpx_eq_u32_e32 0, v1
	s_xor_b32 s4, exec_lo, s4
	s_cbranch_execz .LBB0_14
; %bb.13:
	v_dual_mov_b32 v1, 0 :: v_dual_mov_b32 v2, s1
	global_atomic_and_b32 v1, v2, s[2:3] offset:32 scope:SCOPE_DEV
.LBB0_14:
	s_wait_xcnt 0x0
	s_or_b32 exec_lo, exec_lo, s4
	v_lshlrev_b32_e64 v1, v0, 1
	s_mov_b32 s1, exec_lo
.LBB0_15:                               ; =>This Inner Loop Header: Depth=1
	s_delay_alu instid0(SALU_CYCLE_1)
	s_ctz_i32_b32 s4, s1
	s_delay_alu instid0(VALU_DEP_1) | instid1(SALU_CYCLE_1)
	v_readlane_b32 s5, v1, s4
	s_lshl_b32 s4, 1, s4
	s_delay_alu instid0(SALU_CYCLE_1)
	s_and_not1_b32 s1, s1, s4
	s_or_b32 s0, s0, s5
	s_cmp_lg_u32 s1, 0
	s_cbranch_scc1 .LBB0_15
; %bb.16:
	v_mbcnt_lo_u32_b32 v1, exec_lo, 0
	s_mov_b32 s1, 0
	s_mov_b32 s4, exec_lo
	s_delay_alu instid0(VALU_DEP_1)
	v_cmpx_eq_u32_e32 0, v1
	s_xor_b32 s4, exec_lo, s4
	s_cbranch_execz .LBB0_18
; %bb.17:
	v_dual_mov_b32 v1, 0 :: v_dual_mov_b32 v2, s0
	global_atomic_or_b32 v1, v2, s[2:3] offset:36 scope:SCOPE_DEV
.LBB0_18:
	s_wait_xcnt 0x0
	s_or_b32 exec_lo, exec_lo, s4
	s_delay_alu instid0(SALU_CYCLE_1)
	s_mov_b32 s0, exec_lo
.LBB0_19:                               ; =>This Inner Loop Header: Depth=1
	s_delay_alu instid0(SALU_CYCLE_1) | instskip(NEXT) | instid1(SALU_CYCLE_1)
	s_ctz_i32_b32 s4, s0
	v_readlane_b32 s5, v0, s4
	s_lshl_b32 s4, 1, s4
	s_delay_alu instid0(SALU_CYCLE_1)
	s_and_not1_b32 s0, s0, s4
	s_xor_b32 s1, s1, s5
	s_cmp_lg_u32 s0, 0
	s_cbranch_scc1 .LBB0_19
; %bb.20:
	v_mbcnt_lo_u32_b32 v1, exec_lo, 0
	s_mov_b32 s0, exec_lo
	s_delay_alu instid0(VALU_DEP_1)
	v_cmpx_eq_u32_e32 0, v1
	s_xor_b32 s0, exec_lo, s0
	s_cbranch_execz .LBB0_22
; %bb.21:
	v_dual_mov_b32 v1, 0 :: v_dual_mov_b32 v2, s1
	global_atomic_xor_b32 v1, v2, s[2:3] offset:40 scope:SCOPE_DEV
.LBB0_22:
	s_wait_xcnt 0x0
	s_or_b32 exec_lo, exec_lo, s0
	s_delay_alu instid0(SALU_CYCLE_1) | instskip(SKIP_2) | instid1(VALU_DEP_1)
	s_mov_b32 s1, exec_lo
	s_mov_b32 s0, exec_lo
	v_mbcnt_lo_u32_b32 v1, s1, 0
	v_cmpx_eq_u32_e32 0, v1
	s_cbranch_execz .LBB0_24
; %bb.23:
	s_bcnt1_i32_b32 s1, s1
	s_delay_alu instid0(SALU_CYCLE_1) | instskip(NEXT) | instid1(SALU_CYCLE_1)
	s_mul_i32 s1, s1, -10
	v_dual_mov_b32 v1, 0 :: v_dual_mov_b32 v2, s1
	global_atomic_add_u32 v1, v2, s[2:3] offset:4 scope:SCOPE_DEV
.LBB0_24:
	s_wait_xcnt 0x0
	s_or_b32 exec_lo, exec_lo, s0
	v_mov_b32_e32 v1, 0
	global_atomic_swap_b32 v1, v0, s[2:3] offset:8 scope:SCOPE_DEV
	s_endpgm
	.section	.rodata,"a",@progbits
	.p2align	6, 0x0
	.amdhsa_kernel _Z10testKernelIiEvPT_
		.amdhsa_group_segment_fixed_size 0
		.amdhsa_private_segment_fixed_size 0
		.amdhsa_kernarg_size 264
		.amdhsa_user_sgpr_count 2
		.amdhsa_user_sgpr_dispatch_ptr 0
		.amdhsa_user_sgpr_queue_ptr 0
		.amdhsa_user_sgpr_kernarg_segment_ptr 1
		.amdhsa_user_sgpr_dispatch_id 0
		.amdhsa_user_sgpr_kernarg_preload_length 0
		.amdhsa_user_sgpr_kernarg_preload_offset 0
		.amdhsa_user_sgpr_private_segment_size 0
		.amdhsa_wavefront_size32 1
		.amdhsa_uses_dynamic_stack 0
		.amdhsa_enable_private_segment 0
		.amdhsa_system_sgpr_workgroup_id_x 1
		.amdhsa_system_sgpr_workgroup_id_y 0
		.amdhsa_system_sgpr_workgroup_id_z 0
		.amdhsa_system_sgpr_workgroup_info 0
		.amdhsa_system_vgpr_workitem_id 0
		.amdhsa_next_free_vgpr 5
		.amdhsa_next_free_sgpr 7
		.amdhsa_named_barrier_count 0
		.amdhsa_reserve_vcc 0
		.amdhsa_float_round_mode_32 0
		.amdhsa_float_round_mode_16_64 0
		.amdhsa_float_denorm_mode_32 3
		.amdhsa_float_denorm_mode_16_64 3
		.amdhsa_fp16_overflow 0
		.amdhsa_memory_ordered 1
		.amdhsa_forward_progress 1
		.amdhsa_inst_pref_size 7
		.amdhsa_round_robin_scheduling 0
		.amdhsa_exception_fp_ieee_invalid_op 0
		.amdhsa_exception_fp_denorm_src 0
		.amdhsa_exception_fp_ieee_div_zero 0
		.amdhsa_exception_fp_ieee_overflow 0
		.amdhsa_exception_fp_ieee_underflow 0
		.amdhsa_exception_fp_ieee_inexact 0
		.amdhsa_exception_int_div_zero 0
	.end_amdhsa_kernel
	.section	.text._Z10testKernelIiEvPT_,"axG",@progbits,_Z10testKernelIiEvPT_,comdat
.Lfunc_end0:
	.size	_Z10testKernelIiEvPT_, .Lfunc_end0-_Z10testKernelIiEvPT_
                                        ; -- End function
	.set _Z10testKernelIiEvPT_.num_vgpr, 5
	.set _Z10testKernelIiEvPT_.num_agpr, 0
	.set _Z10testKernelIiEvPT_.numbered_sgpr, 7
	.set _Z10testKernelIiEvPT_.num_named_barrier, 0
	.set _Z10testKernelIiEvPT_.private_seg_size, 0
	.set _Z10testKernelIiEvPT_.uses_vcc, 0
	.set _Z10testKernelIiEvPT_.uses_flat_scratch, 0
	.set _Z10testKernelIiEvPT_.has_dyn_sized_stack, 0
	.set _Z10testKernelIiEvPT_.has_recursion, 0
	.set _Z10testKernelIiEvPT_.has_indirect_call, 0
	.section	.AMDGPU.csdata,"",@progbits
; Kernel info:
; codeLenInByte = 856
; TotalNumSgprs: 7
; NumVgprs: 5
; ScratchSize: 0
; MemoryBound: 0
; FloatMode: 240
; IeeeMode: 1
; LDSByteSize: 0 bytes/workgroup (compile time only)
; SGPRBlocks: 0
; VGPRBlocks: 0
; NumSGPRsForWavesPerEU: 7
; NumVGPRsForWavesPerEU: 5
; NamedBarCnt: 0
; Occupancy: 16
; WaveLimiterHint : 0
; COMPUTE_PGM_RSRC2:SCRATCH_EN: 0
; COMPUTE_PGM_RSRC2:USER_SGPR: 2
; COMPUTE_PGM_RSRC2:TRAP_HANDLER: 0
; COMPUTE_PGM_RSRC2:TGID_X_EN: 1
; COMPUTE_PGM_RSRC2:TGID_Y_EN: 0
; COMPUTE_PGM_RSRC2:TGID_Z_EN: 0
; COMPUTE_PGM_RSRC2:TIDIG_COMP_CNT: 0
	.section	.text._Z10testKernelIjEvPT_,"axG",@progbits,_Z10testKernelIjEvPT_,comdat
	.protected	_Z10testKernelIjEvPT_   ; -- Begin function _Z10testKernelIjEvPT_
	.globl	_Z10testKernelIjEvPT_
	.p2align	8
	.type	_Z10testKernelIjEvPT_,@function
_Z10testKernelIjEvPT_:                  ; @_Z10testKernelIjEvPT_
; %bb.0:
	s_load_b64 s[2:3], s[0:1], 0x0
	s_mov_b32 s5, exec_lo
	s_mov_b32 s4, 0
	v_mbcnt_lo_u32_b32 v1, s5, 0
	s_mov_b32 s6, exec_lo
	s_delay_alu instid0(VALU_DEP_1)
	v_cmpx_eq_u32_e32 0, v1
	s_cbranch_execz .LBB1_2
; %bb.1:
	s_bcnt1_i32_b32 s5, s5
	s_delay_alu instid0(SALU_CYCLE_1) | instskip(NEXT) | instid1(SALU_CYCLE_1)
	s_mul_i32 s5, s5, 10
	v_dual_mov_b32 v1, 0 :: v_dual_mov_b32 v2, s5
	s_wait_xcnt 0x0
	s_wait_kmcnt 0x0
	global_atomic_add_u32 v1, v2, s[2:3] scope:SCOPE_DEV
.LBB1_2:
	s_wait_xcnt 0x0
	s_or_b32 exec_lo, exec_lo, s6
	s_load_b32 s0, s[0:1], 0x14
	s_wait_xcnt 0x0
	s_bfe_u32 s1, ttmp6, 0x4000c
	s_and_b32 s6, ttmp6, 15
	s_add_co_i32 s1, s1, 1
	s_getreg_b32 s7, hwreg(HW_REG_IB_STS2, 6, 4)
	s_mul_i32 s1, ttmp9, s1
	s_mov_b32 s5, exec_lo
	s_add_co_i32 s6, s6, s1
	s_wait_kmcnt 0x0
	s_and_b32 s0, s0, 0xffff
	s_cmp_eq_u32 s7, 0
	s_cselect_b32 s1, ttmp9, s6
	s_delay_alu instid0(SALU_CYCLE_1)
	v_mad_u32 v0, s1, s0, v0
.LBB1_3:                                ; =>This Inner Loop Header: Depth=1
	s_ctz_i32_b32 s0, s5
	s_delay_alu instid0(VALU_DEP_1) | instid1(SALU_CYCLE_1)
	v_readlane_b32 s1, v0, s0
	s_lshl_b32 s0, 1, s0
	s_delay_alu instid0(SALU_CYCLE_1)
	s_and_not1_b32 s5, s5, s0
	s_max_u32 s4, s4, s1
	s_cmp_lg_u32 s5, 0
	s_cbranch_scc1 .LBB1_3
; %bb.4:
	v_mbcnt_lo_u32_b32 v1, exec_lo, 0
	s_mov_b32 s0, exec_lo
	s_delay_alu instid0(VALU_DEP_1)
	v_cmpx_eq_u32_e32 0, v1
	s_xor_b32 s0, exec_lo, s0
	s_cbranch_execz .LBB1_6
; %bb.5:
	v_dual_mov_b32 v1, 0 :: v_dual_mov_b32 v2, s4
	global_atomic_max_u32 v1, v2, s[2:3] offset:12 scope:SCOPE_DEV
.LBB1_6:
	s_wait_xcnt 0x0
	s_or_b32 exec_lo, exec_lo, s0
	s_delay_alu instid0(SALU_CYCLE_1)
	s_mov_b32 s1, exec_lo
	s_mov_b32 s0, -1
.LBB1_7:                                ; =>This Inner Loop Header: Depth=1
	s_ctz_i32_b32 s4, s1
	s_delay_alu instid0(SALU_CYCLE_1) | instskip(SKIP_1) | instid1(SALU_CYCLE_1)
	v_readlane_b32 s5, v0, s4
	s_lshl_b32 s4, 1, s4
	s_and_not1_b32 s1, s1, s4
	s_min_u32 s0, s0, s5
	s_cmp_lg_u32 s1, 0
	s_cbranch_scc1 .LBB1_7
; %bb.8:
	v_mbcnt_lo_u32_b32 v1, exec_lo, 0
	s_mov_b32 s1, exec_lo
	s_delay_alu instid0(VALU_DEP_1)
	v_cmpx_eq_u32_e32 0, v1
	s_xor_b32 s1, exec_lo, s1
	s_cbranch_execz .LBB1_10
; %bb.9:
	v_dual_mov_b32 v1, 0 :: v_dual_mov_b32 v2, s0
	global_atomic_min_u32 v1, v2, s[2:3] offset:16 scope:SCOPE_DEV
.LBB1_10:
	s_wait_xcnt 0x0
	s_or_b32 exec_lo, exec_lo, s1
	v_dual_mov_b32 v2, 0 :: v_dual_mov_b32 v3, 17
	v_dual_mov_b32 v4, 0x89 :: v_dual_add_nc_u32 v1, -1, v0
	s_mov_b32 s0, exec_lo
	global_atomic_inc_u32 v2, v3, s[2:3] offset:20 scope:SCOPE_DEV
	s_wait_xcnt 0x0
	global_atomic_dec_u32 v2, v4, s[2:3] offset:24 scope:SCOPE_DEV
	s_wait_xcnt 0x0
	global_atomic_cmpswap_b32 v2, v[0:1], s[2:3] offset:28 scope:SCOPE_DEV
	s_wait_xcnt 0x0
	v_lshl_add_u32 v1, v0, 1, 7
	s_mov_b32 s1, -1
.LBB1_11:                               ; =>This Inner Loop Header: Depth=1
	s_ctz_i32_b32 s4, s0
	s_delay_alu instid0(VALU_DEP_1) | instid1(SALU_CYCLE_1)
	v_readlane_b32 s5, v1, s4
	s_lshl_b32 s4, 1, s4
	s_delay_alu instid0(SALU_CYCLE_1)
	s_and_not1_b32 s0, s0, s4
	s_and_b32 s1, s1, s5
	s_cmp_lg_u32 s0, 0
	s_cbranch_scc1 .LBB1_11
; %bb.12:
	v_mbcnt_lo_u32_b32 v1, exec_lo, 0
	s_mov_b32 s0, 0
	s_mov_b32 s4, exec_lo
	s_delay_alu instid0(VALU_DEP_1)
	v_cmpx_eq_u32_e32 0, v1
	s_xor_b32 s4, exec_lo, s4
	s_cbranch_execz .LBB1_14
; %bb.13:
	v_dual_mov_b32 v1, 0 :: v_dual_mov_b32 v2, s1
	global_atomic_and_b32 v1, v2, s[2:3] offset:32 scope:SCOPE_DEV
.LBB1_14:
	s_wait_xcnt 0x0
	s_or_b32 exec_lo, exec_lo, s4
	v_lshlrev_b32_e64 v1, v0, 1
	s_mov_b32 s1, exec_lo
.LBB1_15:                               ; =>This Inner Loop Header: Depth=1
	s_delay_alu instid0(SALU_CYCLE_1)
	s_ctz_i32_b32 s4, s1
	s_delay_alu instid0(VALU_DEP_1) | instid1(SALU_CYCLE_1)
	v_readlane_b32 s5, v1, s4
	s_lshl_b32 s4, 1, s4
	s_delay_alu instid0(SALU_CYCLE_1)
	s_and_not1_b32 s1, s1, s4
	s_or_b32 s0, s0, s5
	s_cmp_lg_u32 s1, 0
	s_cbranch_scc1 .LBB1_15
; %bb.16:
	v_mbcnt_lo_u32_b32 v1, exec_lo, 0
	s_mov_b32 s1, 0
	s_mov_b32 s4, exec_lo
	s_delay_alu instid0(VALU_DEP_1)
	v_cmpx_eq_u32_e32 0, v1
	s_xor_b32 s4, exec_lo, s4
	s_cbranch_execz .LBB1_18
; %bb.17:
	v_dual_mov_b32 v1, 0 :: v_dual_mov_b32 v2, s0
	global_atomic_or_b32 v1, v2, s[2:3] offset:36 scope:SCOPE_DEV
.LBB1_18:
	s_wait_xcnt 0x0
	s_or_b32 exec_lo, exec_lo, s4
	s_delay_alu instid0(SALU_CYCLE_1)
	s_mov_b32 s0, exec_lo
.LBB1_19:                               ; =>This Inner Loop Header: Depth=1
	s_delay_alu instid0(SALU_CYCLE_1) | instskip(NEXT) | instid1(SALU_CYCLE_1)
	s_ctz_i32_b32 s4, s0
	v_readlane_b32 s5, v0, s4
	s_lshl_b32 s4, 1, s4
	s_delay_alu instid0(SALU_CYCLE_1)
	s_and_not1_b32 s0, s0, s4
	s_xor_b32 s1, s1, s5
	s_cmp_lg_u32 s0, 0
	s_cbranch_scc1 .LBB1_19
; %bb.20:
	v_mbcnt_lo_u32_b32 v1, exec_lo, 0
	s_mov_b32 s0, exec_lo
	s_delay_alu instid0(VALU_DEP_1)
	v_cmpx_eq_u32_e32 0, v1
	s_xor_b32 s0, exec_lo, s0
	s_cbranch_execz .LBB1_22
; %bb.21:
	v_dual_mov_b32 v1, 0 :: v_dual_mov_b32 v2, s1
	global_atomic_xor_b32 v1, v2, s[2:3] offset:40 scope:SCOPE_DEV
.LBB1_22:
	s_wait_xcnt 0x0
	s_or_b32 exec_lo, exec_lo, s0
	s_delay_alu instid0(SALU_CYCLE_1) | instskip(SKIP_2) | instid1(VALU_DEP_1)
	s_mov_b32 s1, exec_lo
	s_mov_b32 s0, exec_lo
	v_mbcnt_lo_u32_b32 v1, s1, 0
	v_cmpx_eq_u32_e32 0, v1
	s_cbranch_execz .LBB1_24
; %bb.23:
	s_bcnt1_i32_b32 s1, s1
	s_delay_alu instid0(SALU_CYCLE_1) | instskip(NEXT) | instid1(SALU_CYCLE_1)
	s_mul_i32 s1, s1, -10
	v_dual_mov_b32 v1, 0 :: v_dual_mov_b32 v2, s1
	global_atomic_add_u32 v1, v2, s[2:3] offset:4 scope:SCOPE_DEV
.LBB1_24:
	s_wait_xcnt 0x0
	s_or_b32 exec_lo, exec_lo, s0
	v_mov_b32_e32 v1, 0
	global_atomic_swap_b32 v1, v0, s[2:3] offset:8 scope:SCOPE_DEV
	s_endpgm
	.section	.rodata,"a",@progbits
	.p2align	6, 0x0
	.amdhsa_kernel _Z10testKernelIjEvPT_
		.amdhsa_group_segment_fixed_size 0
		.amdhsa_private_segment_fixed_size 0
		.amdhsa_kernarg_size 264
		.amdhsa_user_sgpr_count 2
		.amdhsa_user_sgpr_dispatch_ptr 0
		.amdhsa_user_sgpr_queue_ptr 0
		.amdhsa_user_sgpr_kernarg_segment_ptr 1
		.amdhsa_user_sgpr_dispatch_id 0
		.amdhsa_user_sgpr_kernarg_preload_length 0
		.amdhsa_user_sgpr_kernarg_preload_offset 0
		.amdhsa_user_sgpr_private_segment_size 0
		.amdhsa_wavefront_size32 1
		.amdhsa_uses_dynamic_stack 0
		.amdhsa_enable_private_segment 0
		.amdhsa_system_sgpr_workgroup_id_x 1
		.amdhsa_system_sgpr_workgroup_id_y 0
		.amdhsa_system_sgpr_workgroup_id_z 0
		.amdhsa_system_sgpr_workgroup_info 0
		.amdhsa_system_vgpr_workitem_id 0
		.amdhsa_next_free_vgpr 5
		.amdhsa_next_free_sgpr 8
		.amdhsa_named_barrier_count 0
		.amdhsa_reserve_vcc 0
		.amdhsa_float_round_mode_32 0
		.amdhsa_float_round_mode_16_64 0
		.amdhsa_float_denorm_mode_32 3
		.amdhsa_float_denorm_mode_16_64 3
		.amdhsa_fp16_overflow 0
		.amdhsa_memory_ordered 1
		.amdhsa_forward_progress 1
		.amdhsa_inst_pref_size 7
		.amdhsa_round_robin_scheduling 0
		.amdhsa_exception_fp_ieee_invalid_op 0
		.amdhsa_exception_fp_denorm_src 0
		.amdhsa_exception_fp_ieee_div_zero 0
		.amdhsa_exception_fp_ieee_overflow 0
		.amdhsa_exception_fp_ieee_underflow 0
		.amdhsa_exception_fp_ieee_inexact 0
		.amdhsa_exception_int_div_zero 0
	.end_amdhsa_kernel
	.section	.text._Z10testKernelIjEvPT_,"axG",@progbits,_Z10testKernelIjEvPT_,comdat
.Lfunc_end1:
	.size	_Z10testKernelIjEvPT_, .Lfunc_end1-_Z10testKernelIjEvPT_
                                        ; -- End function
	.set _Z10testKernelIjEvPT_.num_vgpr, 5
	.set _Z10testKernelIjEvPT_.num_agpr, 0
	.set _Z10testKernelIjEvPT_.numbered_sgpr, 8
	.set _Z10testKernelIjEvPT_.num_named_barrier, 0
	.set _Z10testKernelIjEvPT_.private_seg_size, 0
	.set _Z10testKernelIjEvPT_.uses_vcc, 0
	.set _Z10testKernelIjEvPT_.uses_flat_scratch, 0
	.set _Z10testKernelIjEvPT_.has_dyn_sized_stack, 0
	.set _Z10testKernelIjEvPT_.has_recursion, 0
	.set _Z10testKernelIjEvPT_.has_indirect_call, 0
	.section	.AMDGPU.csdata,"",@progbits
; Kernel info:
; codeLenInByte = 856
; TotalNumSgprs: 8
; NumVgprs: 5
; ScratchSize: 0
; MemoryBound: 0
; FloatMode: 240
; IeeeMode: 1
; LDSByteSize: 0 bytes/workgroup (compile time only)
; SGPRBlocks: 0
; VGPRBlocks: 0
; NumSGPRsForWavesPerEU: 8
; NumVGPRsForWavesPerEU: 5
; NamedBarCnt: 0
; Occupancy: 16
; WaveLimiterHint : 0
; COMPUTE_PGM_RSRC2:SCRATCH_EN: 0
; COMPUTE_PGM_RSRC2:USER_SGPR: 2
; COMPUTE_PGM_RSRC2:TRAP_HANDLER: 0
; COMPUTE_PGM_RSRC2:TGID_X_EN: 1
; COMPUTE_PGM_RSRC2:TGID_Y_EN: 0
; COMPUTE_PGM_RSRC2:TGID_Z_EN: 0
; COMPUTE_PGM_RSRC2:TIDIG_COMP_CNT: 0
	.section	.text._Z10testKernelIyEvPT_,"axG",@progbits,_Z10testKernelIyEvPT_,comdat
	.protected	_Z10testKernelIyEvPT_   ; -- Begin function _Z10testKernelIyEvPT_
	.globl	_Z10testKernelIyEvPT_
	.p2align	8
	.type	_Z10testKernelIyEvPT_,@function
_Z10testKernelIyEvPT_:                  ; @_Z10testKernelIyEvPT_
; %bb.0:
	s_load_b64 s[2:3], s[0:1], 0x0
	s_mov_b32 s5, exec_lo
	s_mov_b32 s4, exec_lo
	v_mbcnt_lo_u32_b32 v1, s5, 0
	s_delay_alu instid0(VALU_DEP_1)
	v_cmpx_eq_u32_e32 0, v1
	s_cbranch_execz .LBB2_2
; %bb.1:
	s_bcnt1_i32_b32 s5, s5
	v_mov_b32_e32 v3, 0
	s_mul_i32 s5, s5, 10
	s_delay_alu instid0(SALU_CYCLE_1)
	v_mov_b32_e32 v2, s5
	s_wait_xcnt 0x0
	s_wait_kmcnt 0x0
	global_atomic_add_u64 v3, v[2:3], s[2:3] scope:SCOPE_DEV
.LBB2_2:
	s_wait_xcnt 0x0
	s_or_b32 exec_lo, exec_lo, s4
	s_load_b32 s0, s[0:1], 0x14
	s_wait_xcnt 0x0
	s_bfe_u32 s1, ttmp6, 0x4000c
	s_and_b32 s5, ttmp6, 15
	s_add_co_i32 s1, s1, 1
	s_getreg_b32 s6, hwreg(HW_REG_IB_STS2, 6, 4)
	s_mul_i32 s1, ttmp9, s1
	v_mov_b64_e32 v[2:3], 0
	s_add_co_i32 s5, s5, s1
	v_mov_b32_e32 v1, 0
	s_mov_b32 s4, exec_lo
	s_wait_kmcnt 0x0
	s_and_b32 s0, s0, 0xffff
	s_cmp_eq_u32 s6, 0
	s_cselect_b32 s1, ttmp9, s5
	s_delay_alu instid0(SALU_CYCLE_1)
	v_mad_u32 v0, s1, s0, v0
.LBB2_3:                                ; =>This Inner Loop Header: Depth=1
	s_ctz_i32_b32 s5, s4
	s_delay_alu instid0(SALU_CYCLE_1) | instskip(NEXT) | instid1(VALU_DEP_2)
	v_readlane_b32 s1, v1, s5
	v_readlane_b32 s0, v0, s5
	s_delay_alu instid0(VALU_DEP_1) | instskip(SKIP_1) | instid1(SALU_CYCLE_1)
	v_max_u64 v[2:3], v[2:3], s[0:1]
	s_lshl_b32 s0, 1, s5
	s_and_not1_b32 s4, s4, s0
	s_delay_alu instid0(SALU_CYCLE_1)
	s_cmp_lg_u32 s4, 0
	s_cbranch_scc1 .LBB2_3
; %bb.4:
	v_mbcnt_lo_u32_b32 v4, exec_lo, 0
	s_mov_b32 s0, exec_lo
	s_delay_alu instid0(VALU_DEP_1)
	v_cmpx_eq_u32_e32 0, v4
	s_xor_b32 s0, exec_lo, s0
	s_cbranch_execz .LBB2_6
; %bb.5:
	v_mov_b32_e32 v4, 0
	global_atomic_max_u64 v4, v[2:3], s[2:3] offset:24 scope:SCOPE_DEV
.LBB2_6:
	s_wait_xcnt 0x0
	s_or_b32 exec_lo, exec_lo, s0
	v_mov_b64_e32 v[2:3], -1
	v_mov_b32_e32 v4, 0
	s_mov_b32 s0, exec_lo
.LBB2_7:                                ; =>This Inner Loop Header: Depth=1
	s_delay_alu instid0(SALU_CYCLE_1)
	s_ctz_i32_b32 s1, s0
	s_delay_alu instid0(VALU_DEP_1) | instid1(SALU_CYCLE_1)
	v_readlane_b32 s5, v4, s1
	v_readlane_b32 s4, v0, s1
	s_lshl_b32 s1, 1, s1
	s_delay_alu instid0(SALU_CYCLE_1)
	s_and_not1_b32 s0, s0, s1
	v_min_u64 v[2:3], v[2:3], s[4:5]
	s_cmp_lg_u32 s0, 0
	s_cbranch_scc1 .LBB2_7
; %bb.8:
	v_mbcnt_lo_u32_b32 v4, exec_lo, 0
	s_mov_b32 s0, exec_lo
	s_delay_alu instid0(VALU_DEP_1)
	v_cmpx_eq_u32_e32 0, v4
	s_xor_b32 s0, exec_lo, s0
	s_cbranch_execz .LBB2_10
; %bb.9:
	v_mov_b32_e32 v4, 0
	global_atomic_min_u64 v4, v[2:3], s[2:3] offset:32 scope:SCOPE_DEV
.LBB2_10:
	s_wait_xcnt 0x0
	s_or_b32 exec_lo, exec_lo, s0
	v_dual_mov_b32 v4, 0 :: v_dual_mov_b32 v5, 17
	v_add_nc_u64_e32 v[2:3], -1, v[0:1]
	v_mov_b32_e32 v6, 0x89
	s_mov_b32 s4, exec_lo
	global_atomic_inc_u32 v4, v5, s[2:3] offset:40 scope:SCOPE_DEV
	s_wait_xcnt 0x0
	global_atomic_dec_u32 v4, v6, s[2:3] offset:48 scope:SCOPE_DEV
	s_wait_xcnt 0x0
	global_atomic_cmpswap_b64 v4, v[0:3], s[2:3] offset:56 scope:SCOPE_DEV
	s_wait_xcnt 0x0
	v_lshl_add_u64 v[2:3], v[0:1], 1, 7
	s_mov_b64 s[0:1], -1
.LBB2_11:                               ; =>This Inner Loop Header: Depth=1
	s_ctz_i32_b32 s5, s4
	s_delay_alu instid0(VALU_DEP_1) | instid1(SALU_CYCLE_1)
	v_readlane_b32 s7, v3, s5
	s_delay_alu instid0(VALU_DEP_2) | instskip(SKIP_1) | instid1(SALU_CYCLE_1)
	v_readlane_b32 s6, v2, s5
	s_lshl_b32 s5, 1, s5
	s_and_not1_b32 s4, s4, s5
	s_and_b64 s[0:1], s[0:1], s[6:7]
	s_cmp_lg_u32 s4, 0
	s_cbranch_scc1 .LBB2_11
; %bb.12:
	v_mbcnt_lo_u32_b32 v2, exec_lo, 0
	s_mov_b32 s4, exec_lo
	s_delay_alu instid0(VALU_DEP_1)
	v_cmpx_eq_u32_e32 0, v2
	s_xor_b32 s4, exec_lo, s4
	s_cbranch_execz .LBB2_14
; %bb.13:
	v_mov_b64_e32 v[2:3], s[0:1]
	v_mov_b32_e32 v4, 0
	global_atomic_and_b64 v4, v[2:3], s[2:3] offset:64 scope:SCOPE_DEV
.LBB2_14:
	s_wait_xcnt 0x0
	s_or_b32 exec_lo, exec_lo, s4
	v_lshlrev_b32_e64 v2, v0, 1
	s_mov_b32 s4, exec_lo
	s_mov_b64 s[0:1], 0
	s_delay_alu instid0(VALU_DEP_1)
	v_ashrrev_i32_e32 v3, 31, v2
.LBB2_15:                               ; =>This Inner Loop Header: Depth=1
	s_ctz_i32_b32 s5, s4
	s_delay_alu instid0(VALU_DEP_1) | instid1(SALU_CYCLE_1)
	v_readlane_b32 s7, v3, s5
	v_readlane_b32 s6, v2, s5
	s_lshl_b32 s5, 1, s5
	s_delay_alu instid0(SALU_CYCLE_1)
	s_and_not1_b32 s4, s4, s5
	s_or_b64 s[0:1], s[0:1], s[6:7]
	s_cmp_lg_u32 s4, 0
	s_cbranch_scc1 .LBB2_15
; %bb.16:
	v_mbcnt_lo_u32_b32 v2, exec_lo, 0
	s_mov_b32 s4, exec_lo
	s_delay_alu instid0(VALU_DEP_1)
	v_cmpx_eq_u32_e32 0, v2
	s_xor_b32 s4, exec_lo, s4
	s_cbranch_execz .LBB2_18
; %bb.17:
	v_mov_b64_e32 v[2:3], s[0:1]
	v_mov_b32_e32 v4, 0
	global_atomic_or_b64 v4, v[2:3], s[2:3] offset:72 scope:SCOPE_DEV
.LBB2_18:
	s_wait_xcnt 0x0
	s_or_b32 exec_lo, exec_lo, s4
	v_mov_b32_e32 v2, 0
	s_mov_b32 s4, exec_lo
	s_mov_b64 s[0:1], 0
.LBB2_19:                               ; =>This Inner Loop Header: Depth=1
	s_ctz_i32_b32 s5, s4
	s_delay_alu instid0(VALU_DEP_1) | instid1(SALU_CYCLE_1)
	v_readlane_b32 s7, v2, s5
	v_readlane_b32 s6, v0, s5
	s_lshl_b32 s5, 1, s5
	s_delay_alu instid0(SALU_CYCLE_1)
	s_and_not1_b32 s4, s4, s5
	s_xor_b64 s[0:1], s[0:1], s[6:7]
	s_cmp_lg_u32 s4, 0
	s_cbranch_scc1 .LBB2_19
; %bb.20:
	v_mbcnt_lo_u32_b32 v2, exec_lo, 0
	s_mov_b32 s4, exec_lo
	s_delay_alu instid0(VALU_DEP_1)
	v_cmpx_eq_u32_e32 0, v2
	s_xor_b32 s4, exec_lo, s4
	s_cbranch_execz .LBB2_22
; %bb.21:
	v_mov_b64_e32 v[2:3], s[0:1]
	v_mov_b32_e32 v4, 0
	global_atomic_xor_b64 v4, v[2:3], s[2:3] offset:80 scope:SCOPE_DEV
.LBB2_22:
	s_wait_xcnt 0x0
	s_or_b32 exec_lo, exec_lo, s4
	v_mov_b32_e32 v2, 0
	global_atomic_swap_b64 v2, v[0:1], s[2:3] offset:16 scope:SCOPE_DEV
	s_endpgm
	.section	.rodata,"a",@progbits
	.p2align	6, 0x0
	.amdhsa_kernel _Z10testKernelIyEvPT_
		.amdhsa_group_segment_fixed_size 0
		.amdhsa_private_segment_fixed_size 0
		.amdhsa_kernarg_size 264
		.amdhsa_user_sgpr_count 2
		.amdhsa_user_sgpr_dispatch_ptr 0
		.amdhsa_user_sgpr_queue_ptr 0
		.amdhsa_user_sgpr_kernarg_segment_ptr 1
		.amdhsa_user_sgpr_dispatch_id 0
		.amdhsa_user_sgpr_kernarg_preload_length 0
		.amdhsa_user_sgpr_kernarg_preload_offset 0
		.amdhsa_user_sgpr_private_segment_size 0
		.amdhsa_wavefront_size32 1
		.amdhsa_uses_dynamic_stack 0
		.amdhsa_enable_private_segment 0
		.amdhsa_system_sgpr_workgroup_id_x 1
		.amdhsa_system_sgpr_workgroup_id_y 0
		.amdhsa_system_sgpr_workgroup_id_z 0
		.amdhsa_system_sgpr_workgroup_info 0
		.amdhsa_system_vgpr_workitem_id 0
		.amdhsa_next_free_vgpr 7
		.amdhsa_next_free_sgpr 8
		.amdhsa_named_barrier_count 0
		.amdhsa_reserve_vcc 0
		.amdhsa_float_round_mode_32 0
		.amdhsa_float_round_mode_16_64 0
		.amdhsa_float_denorm_mode_32 3
		.amdhsa_float_denorm_mode_16_64 3
		.amdhsa_fp16_overflow 0
		.amdhsa_memory_ordered 1
		.amdhsa_forward_progress 1
		.amdhsa_inst_pref_size 7
		.amdhsa_round_robin_scheduling 0
		.amdhsa_exception_fp_ieee_invalid_op 0
		.amdhsa_exception_fp_denorm_src 0
		.amdhsa_exception_fp_ieee_div_zero 0
		.amdhsa_exception_fp_ieee_overflow 0
		.amdhsa_exception_fp_ieee_underflow 0
		.amdhsa_exception_fp_ieee_inexact 0
		.amdhsa_exception_int_div_zero 0
	.end_amdhsa_kernel
	.section	.text._Z10testKernelIyEvPT_,"axG",@progbits,_Z10testKernelIyEvPT_,comdat
.Lfunc_end2:
	.size	_Z10testKernelIyEvPT_, .Lfunc_end2-_Z10testKernelIyEvPT_
                                        ; -- End function
	.set _Z10testKernelIyEvPT_.num_vgpr, 7
	.set _Z10testKernelIyEvPT_.num_agpr, 0
	.set _Z10testKernelIyEvPT_.numbered_sgpr, 8
	.set _Z10testKernelIyEvPT_.num_named_barrier, 0
	.set _Z10testKernelIyEvPT_.private_seg_size, 0
	.set _Z10testKernelIyEvPT_.uses_vcc, 0
	.set _Z10testKernelIyEvPT_.uses_flat_scratch, 0
	.set _Z10testKernelIyEvPT_.has_dyn_sized_stack, 0
	.set _Z10testKernelIyEvPT_.has_recursion, 0
	.set _Z10testKernelIyEvPT_.has_indirect_call, 0
	.section	.AMDGPU.csdata,"",@progbits
; Kernel info:
; codeLenInByte = 848
; TotalNumSgprs: 8
; NumVgprs: 7
; ScratchSize: 0
; MemoryBound: 0
; FloatMode: 240
; IeeeMode: 1
; LDSByteSize: 0 bytes/workgroup (compile time only)
; SGPRBlocks: 0
; VGPRBlocks: 0
; NumSGPRsForWavesPerEU: 8
; NumVGPRsForWavesPerEU: 7
; NamedBarCnt: 0
; Occupancy: 16
; WaveLimiterHint : 0
; COMPUTE_PGM_RSRC2:SCRATCH_EN: 0
; COMPUTE_PGM_RSRC2:USER_SGPR: 2
; COMPUTE_PGM_RSRC2:TRAP_HANDLER: 0
; COMPUTE_PGM_RSRC2:TGID_X_EN: 1
; COMPUTE_PGM_RSRC2:TGID_Y_EN: 0
; COMPUTE_PGM_RSRC2:TGID_Z_EN: 0
; COMPUTE_PGM_RSRC2:TIDIG_COMP_CNT: 0
	.section	.text._Z10testKernelIfEvPT_,"axG",@progbits,_Z10testKernelIfEvPT_,comdat
	.protected	_Z10testKernelIfEvPT_   ; -- Begin function _Z10testKernelIfEvPT_
	.globl	_Z10testKernelIfEvPT_
	.p2align	8
	.type	_Z10testKernelIfEvPT_,@function
_Z10testKernelIfEvPT_:                  ; @_Z10testKernelIfEvPT_
; %bb.0:
	s_load_b64 s[2:3], s[0:1], 0x0
	s_mov_b32 s5, exec_lo
	s_mov_b32 s4, exec_lo
	v_mbcnt_lo_u32_b32 v1, s5, 0
	s_delay_alu instid0(VALU_DEP_1)
	v_cmpx_eq_u32_e32 0, v1
	s_cbranch_execz .LBB3_2
; %bb.1:
	s_bcnt1_i32_b32 s5, s5
	v_mov_b32_e32 v2, 0
	v_cvt_f32_ubyte0_e32 v1, s5
	s_delay_alu instid0(VALU_DEP_1)
	v_mul_f32_e32 v1, 0x41200000, v1
	s_wait_xcnt 0x0
	s_wait_kmcnt 0x0
	global_atomic_add_f32 v2, v1, s[2:3] scope:SCOPE_DEV
.LBB3_2:
	s_wait_xcnt 0x0
	s_or_b32 exec_lo, exec_lo, s4
	s_load_b32 s0, s[0:1], 0x14
	s_wait_xcnt 0x0
	s_bfe_u32 s1, ttmp6, 0x4000c
	s_and_b32 s4, ttmp6, 15
	s_add_co_i32 s1, s1, 1
	s_getreg_b32 s5, hwreg(HW_REG_IB_STS2, 6, 4)
	s_mul_i32 s1, ttmp9, s1
	v_mov_b32_e32 v1, 0
	s_add_co_i32 s4, s4, s1
	s_wait_kmcnt 0x0
	s_and_b32 s0, s0, 0xffff
	s_cmp_eq_u32 s5, 0
	s_cselect_b32 s1, ttmp9, s4
	s_delay_alu instid0(SALU_CYCLE_1) | instskip(NEXT) | instid1(VALU_DEP_1)
	v_mad_u32 v0, s1, s0, v0
	v_cvt_f32_u32_e32 v0, v0
	global_atomic_swap_b32 v1, v0, s[2:3] offset:8 scope:SCOPE_DEV
	s_endpgm
	.section	.rodata,"a",@progbits
	.p2align	6, 0x0
	.amdhsa_kernel _Z10testKernelIfEvPT_
		.amdhsa_group_segment_fixed_size 0
		.amdhsa_private_segment_fixed_size 0
		.amdhsa_kernarg_size 264
		.amdhsa_user_sgpr_count 2
		.amdhsa_user_sgpr_dispatch_ptr 0
		.amdhsa_user_sgpr_queue_ptr 0
		.amdhsa_user_sgpr_kernarg_segment_ptr 1
		.amdhsa_user_sgpr_dispatch_id 0
		.amdhsa_user_sgpr_kernarg_preload_length 0
		.amdhsa_user_sgpr_kernarg_preload_offset 0
		.amdhsa_user_sgpr_private_segment_size 0
		.amdhsa_wavefront_size32 1
		.amdhsa_uses_dynamic_stack 0
		.amdhsa_enable_private_segment 0
		.amdhsa_system_sgpr_workgroup_id_x 1
		.amdhsa_system_sgpr_workgroup_id_y 0
		.amdhsa_system_sgpr_workgroup_id_z 0
		.amdhsa_system_sgpr_workgroup_info 0
		.amdhsa_system_vgpr_workitem_id 0
		.amdhsa_next_free_vgpr 3
		.amdhsa_next_free_sgpr 6
		.amdhsa_named_barrier_count 0
		.amdhsa_reserve_vcc 0
		.amdhsa_float_round_mode_32 0
		.amdhsa_float_round_mode_16_64 0
		.amdhsa_float_denorm_mode_32 3
		.amdhsa_float_denorm_mode_16_64 3
		.amdhsa_fp16_overflow 0
		.amdhsa_memory_ordered 1
		.amdhsa_forward_progress 1
		.amdhsa_inst_pref_size 2
		.amdhsa_round_robin_scheduling 0
		.amdhsa_exception_fp_ieee_invalid_op 0
		.amdhsa_exception_fp_denorm_src 0
		.amdhsa_exception_fp_ieee_div_zero 0
		.amdhsa_exception_fp_ieee_overflow 0
		.amdhsa_exception_fp_ieee_underflow 0
		.amdhsa_exception_fp_ieee_inexact 0
		.amdhsa_exception_int_div_zero 0
	.end_amdhsa_kernel
	.section	.text._Z10testKernelIfEvPT_,"axG",@progbits,_Z10testKernelIfEvPT_,comdat
.Lfunc_end3:
	.size	_Z10testKernelIfEvPT_, .Lfunc_end3-_Z10testKernelIfEvPT_
                                        ; -- End function
	.set _Z10testKernelIfEvPT_.num_vgpr, 3
	.set _Z10testKernelIfEvPT_.num_agpr, 0
	.set _Z10testKernelIfEvPT_.numbered_sgpr, 6
	.set _Z10testKernelIfEvPT_.num_named_barrier, 0
	.set _Z10testKernelIfEvPT_.private_seg_size, 0
	.set _Z10testKernelIfEvPT_.uses_vcc, 0
	.set _Z10testKernelIfEvPT_.uses_flat_scratch, 0
	.set _Z10testKernelIfEvPT_.has_dyn_sized_stack, 0
	.set _Z10testKernelIfEvPT_.has_recursion, 0
	.set _Z10testKernelIfEvPT_.has_indirect_call, 0
	.section	.AMDGPU.csdata,"",@progbits
; Kernel info:
; codeLenInByte = 184
; TotalNumSgprs: 6
; NumVgprs: 3
; ScratchSize: 0
; MemoryBound: 0
; FloatMode: 240
; IeeeMode: 1
; LDSByteSize: 0 bytes/workgroup (compile time only)
; SGPRBlocks: 0
; VGPRBlocks: 0
; NumSGPRsForWavesPerEU: 6
; NumVGPRsForWavesPerEU: 3
; NamedBarCnt: 0
; Occupancy: 16
; WaveLimiterHint : 0
; COMPUTE_PGM_RSRC2:SCRATCH_EN: 0
; COMPUTE_PGM_RSRC2:USER_SGPR: 2
; COMPUTE_PGM_RSRC2:TRAP_HANDLER: 0
; COMPUTE_PGM_RSRC2:TGID_X_EN: 1
; COMPUTE_PGM_RSRC2:TGID_Y_EN: 0
; COMPUTE_PGM_RSRC2:TGID_Z_EN: 0
; COMPUTE_PGM_RSRC2:TIDIG_COMP_CNT: 0
	.section	.AMDGPU.gpr_maximums,"",@progbits
	.set amdgpu.max_num_vgpr, 0
	.set amdgpu.max_num_agpr, 0
	.set amdgpu.max_num_sgpr, 0
	.section	.AMDGPU.csdata,"",@progbits
	.type	__hip_cuid_e39e6c510460e679,@object ; @__hip_cuid_e39e6c510460e679
	.section	.bss,"aw",@nobits
	.globl	__hip_cuid_e39e6c510460e679
__hip_cuid_e39e6c510460e679:
	.byte	0                               ; 0x0
	.size	__hip_cuid_e39e6c510460e679, 1

	.ident	"AMD clang version 22.0.0git (https://github.com/RadeonOpenCompute/llvm-project roc-7.2.4 26084 f58b06dce1f9c15707c5f808fd002e18c2accf7e)"
	.section	".note.GNU-stack","",@progbits
	.addrsig
	.addrsig_sym __hip_cuid_e39e6c510460e679
	.amdgpu_metadata
---
amdhsa.kernels:
  - .args:
      - .address_space:  global
        .offset:         0
        .size:           8
        .value_kind:     global_buffer
      - .offset:         8
        .size:           4
        .value_kind:     hidden_block_count_x
      - .offset:         12
        .size:           4
        .value_kind:     hidden_block_count_y
      - .offset:         16
        .size:           4
        .value_kind:     hidden_block_count_z
      - .offset:         20
        .size:           2
        .value_kind:     hidden_group_size_x
      - .offset:         22
        .size:           2
        .value_kind:     hidden_group_size_y
      - .offset:         24
        .size:           2
        .value_kind:     hidden_group_size_z
      - .offset:         26
        .size:           2
        .value_kind:     hidden_remainder_x
      - .offset:         28
        .size:           2
        .value_kind:     hidden_remainder_y
      - .offset:         30
        .size:           2
        .value_kind:     hidden_remainder_z
      - .offset:         48
        .size:           8
        .value_kind:     hidden_global_offset_x
      - .offset:         56
        .size:           8
        .value_kind:     hidden_global_offset_y
      - .offset:         64
        .size:           8
        .value_kind:     hidden_global_offset_z
      - .offset:         72
        .size:           2
        .value_kind:     hidden_grid_dims
    .group_segment_fixed_size: 0
    .kernarg_segment_align: 8
    .kernarg_segment_size: 264
    .language:       OpenCL C
    .language_version:
      - 2
      - 0
    .max_flat_workgroup_size: 1024
    .name:           _Z10testKernelIiEvPT_
    .private_segment_fixed_size: 0
    .sgpr_count:     7
    .sgpr_spill_count: 0
    .symbol:         _Z10testKernelIiEvPT_.kd
    .uniform_work_group_size: 1
    .uses_dynamic_stack: false
    .vgpr_count:     5
    .vgpr_spill_count: 0
    .wavefront_size: 32
  - .args:
      - .address_space:  global
        .offset:         0
        .size:           8
        .value_kind:     global_buffer
      - .offset:         8
        .size:           4
        .value_kind:     hidden_block_count_x
      - .offset:         12
        .size:           4
        .value_kind:     hidden_block_count_y
      - .offset:         16
        .size:           4
        .value_kind:     hidden_block_count_z
      - .offset:         20
        .size:           2
        .value_kind:     hidden_group_size_x
      - .offset:         22
        .size:           2
        .value_kind:     hidden_group_size_y
      - .offset:         24
        .size:           2
        .value_kind:     hidden_group_size_z
      - .offset:         26
        .size:           2
        .value_kind:     hidden_remainder_x
      - .offset:         28
        .size:           2
        .value_kind:     hidden_remainder_y
      - .offset:         30
        .size:           2
        .value_kind:     hidden_remainder_z
      - .offset:         48
        .size:           8
        .value_kind:     hidden_global_offset_x
      - .offset:         56
        .size:           8
        .value_kind:     hidden_global_offset_y
      - .offset:         64
        .size:           8
        .value_kind:     hidden_global_offset_z
      - .offset:         72
        .size:           2
        .value_kind:     hidden_grid_dims
    .group_segment_fixed_size: 0
    .kernarg_segment_align: 8
    .kernarg_segment_size: 264
    .language:       OpenCL C
    .language_version:
      - 2
      - 0
    .max_flat_workgroup_size: 1024
    .name:           _Z10testKernelIjEvPT_
    .private_segment_fixed_size: 0
    .sgpr_count:     8
    .sgpr_spill_count: 0
    .symbol:         _Z10testKernelIjEvPT_.kd
    .uniform_work_group_size: 1
    .uses_dynamic_stack: false
    .vgpr_count:     5
    .vgpr_spill_count: 0
    .wavefront_size: 32
  - .args:
      - .address_space:  global
        .offset:         0
        .size:           8
        .value_kind:     global_buffer
      - .offset:         8
        .size:           4
        .value_kind:     hidden_block_count_x
      - .offset:         12
        .size:           4
        .value_kind:     hidden_block_count_y
      - .offset:         16
        .size:           4
        .value_kind:     hidden_block_count_z
      - .offset:         20
        .size:           2
        .value_kind:     hidden_group_size_x
      - .offset:         22
        .size:           2
        .value_kind:     hidden_group_size_y
      - .offset:         24
        .size:           2
        .value_kind:     hidden_group_size_z
      - .offset:         26
        .size:           2
        .value_kind:     hidden_remainder_x
      - .offset:         28
        .size:           2
        .value_kind:     hidden_remainder_y
      - .offset:         30
        .size:           2
        .value_kind:     hidden_remainder_z
      - .offset:         48
        .size:           8
        .value_kind:     hidden_global_offset_x
      - .offset:         56
        .size:           8
        .value_kind:     hidden_global_offset_y
      - .offset:         64
        .size:           8
        .value_kind:     hidden_global_offset_z
      - .offset:         72
        .size:           2
        .value_kind:     hidden_grid_dims
    .group_segment_fixed_size: 0
    .kernarg_segment_align: 8
    .kernarg_segment_size: 264
    .language:       OpenCL C
    .language_version:
      - 2
      - 0
    .max_flat_workgroup_size: 1024
    .name:           _Z10testKernelIyEvPT_
    .private_segment_fixed_size: 0
    .sgpr_count:     8
    .sgpr_spill_count: 0
    .symbol:         _Z10testKernelIyEvPT_.kd
    .uniform_work_group_size: 1
    .uses_dynamic_stack: false
    .vgpr_count:     7
    .vgpr_spill_count: 0
    .wavefront_size: 32
  - .args:
      - .address_space:  global
        .offset:         0
        .size:           8
        .value_kind:     global_buffer
      - .offset:         8
        .size:           4
        .value_kind:     hidden_block_count_x
      - .offset:         12
        .size:           4
        .value_kind:     hidden_block_count_y
      - .offset:         16
        .size:           4
        .value_kind:     hidden_block_count_z
      - .offset:         20
        .size:           2
        .value_kind:     hidden_group_size_x
      - .offset:         22
        .size:           2
        .value_kind:     hidden_group_size_y
      - .offset:         24
        .size:           2
        .value_kind:     hidden_group_size_z
      - .offset:         26
        .size:           2
        .value_kind:     hidden_remainder_x
      - .offset:         28
        .size:           2
        .value_kind:     hidden_remainder_y
      - .offset:         30
        .size:           2
        .value_kind:     hidden_remainder_z
      - .offset:         48
        .size:           8
        .value_kind:     hidden_global_offset_x
      - .offset:         56
        .size:           8
        .value_kind:     hidden_global_offset_y
      - .offset:         64
        .size:           8
        .value_kind:     hidden_global_offset_z
      - .offset:         72
        .size:           2
        .value_kind:     hidden_grid_dims
    .group_segment_fixed_size: 0
    .kernarg_segment_align: 8
    .kernarg_segment_size: 264
    .language:       OpenCL C
    .language_version:
      - 2
      - 0
    .max_flat_workgroup_size: 1024
    .name:           _Z10testKernelIfEvPT_
    .private_segment_fixed_size: 0
    .sgpr_count:     6
    .sgpr_spill_count: 0
    .symbol:         _Z10testKernelIfEvPT_.kd
    .uniform_work_group_size: 1
    .uses_dynamic_stack: false
    .vgpr_count:     3
    .vgpr_spill_count: 0
    .wavefront_size: 32
amdhsa.target:   amdgcn-amd-amdhsa--gfx1250
amdhsa.version:
  - 1
  - 2
...

	.end_amdgpu_metadata
